;; amdgpu-corpus repo=ROCm/rocFFT kind=compiled arch=gfx1030 opt=O3
	.text
	.amdgcn_target "amdgcn-amd-amdhsa--gfx1030"
	.amdhsa_code_object_version 6
	.protected	fft_rtc_back_len945_factors_3_3_3_5_7_wgs_63_tpt_63_halfLds_half_op_CI_CI_unitstride_sbrr_dirReg ; -- Begin function fft_rtc_back_len945_factors_3_3_3_5_7_wgs_63_tpt_63_halfLds_half_op_CI_CI_unitstride_sbrr_dirReg
	.globl	fft_rtc_back_len945_factors_3_3_3_5_7_wgs_63_tpt_63_halfLds_half_op_CI_CI_unitstride_sbrr_dirReg
	.p2align	8
	.type	fft_rtc_back_len945_factors_3_3_3_5_7_wgs_63_tpt_63_halfLds_half_op_CI_CI_unitstride_sbrr_dirReg,@function
fft_rtc_back_len945_factors_3_3_3_5_7_wgs_63_tpt_63_halfLds_half_op_CI_CI_unitstride_sbrr_dirReg: ; @fft_rtc_back_len945_factors_3_3_3_5_7_wgs_63_tpt_63_halfLds_half_op_CI_CI_unitstride_sbrr_dirReg
; %bb.0:
	s_clause 0x2
	s_load_dwordx4 s[8:11], s[4:5], 0x0
	s_load_dwordx4 s[12:15], s[4:5], 0x58
	;; [unrolled: 1-line block ×3, first 2 shown]
	v_mul_u32_u24_e32 v1, 0x411, v0
	v_mov_b32_e32 v3, 0
	v_add_nc_u32_sdwa v5, s6, v1 dst_sel:DWORD dst_unused:UNUSED_PAD src0_sel:DWORD src1_sel:WORD_1
	v_mov_b32_e32 v1, 0
	v_mov_b32_e32 v6, v3
	v_mov_b32_e32 v2, 0
	s_waitcnt lgkmcnt(0)
	v_cmp_lt_u64_e64 s0, s[10:11], 2
	s_and_b32 vcc_lo, exec_lo, s0
	s_cbranch_vccnz .LBB0_8
; %bb.1:
	s_load_dwordx2 s[0:1], s[4:5], 0x10
	v_mov_b32_e32 v1, 0
	v_mov_b32_e32 v2, 0
	s_add_u32 s2, s18, 8
	s_addc_u32 s3, s19, 0
	s_add_u32 s6, s16, 8
	s_addc_u32 s7, s17, 0
	v_mov_b32_e32 v9, v2
	v_mov_b32_e32 v8, v1
	s_mov_b64 s[22:23], 1
	s_waitcnt lgkmcnt(0)
	s_add_u32 s20, s0, 8
	s_addc_u32 s21, s1, 0
.LBB0_2:                                ; =>This Inner Loop Header: Depth=1
	s_load_dwordx2 s[24:25], s[20:21], 0x0
                                        ; implicit-def: $vgpr10_vgpr11
	s_mov_b32 s0, exec_lo
	s_waitcnt lgkmcnt(0)
	v_or_b32_e32 v4, s25, v6
	v_cmpx_ne_u64_e32 0, v[3:4]
	s_xor_b32 s1, exec_lo, s0
	s_cbranch_execz .LBB0_4
; %bb.3:                                ;   in Loop: Header=BB0_2 Depth=1
	v_cvt_f32_u32_e32 v4, s24
	v_cvt_f32_u32_e32 v7, s25
	s_sub_u32 s0, 0, s24
	s_subb_u32 s26, 0, s25
	v_fmac_f32_e32 v4, 0x4f800000, v7
	v_rcp_f32_e32 v4, v4
	v_mul_f32_e32 v4, 0x5f7ffffc, v4
	v_mul_f32_e32 v7, 0x2f800000, v4
	v_trunc_f32_e32 v7, v7
	v_fmac_f32_e32 v4, 0xcf800000, v7
	v_cvt_u32_f32_e32 v7, v7
	v_cvt_u32_f32_e32 v4, v4
	v_mul_lo_u32 v10, s0, v7
	v_mul_hi_u32 v11, s0, v4
	v_mul_lo_u32 v12, s26, v4
	v_add_nc_u32_e32 v10, v11, v10
	v_mul_lo_u32 v11, s0, v4
	v_add_nc_u32_e32 v10, v10, v12
	v_mul_hi_u32 v12, v4, v11
	v_mul_lo_u32 v13, v4, v10
	v_mul_hi_u32 v14, v4, v10
	v_mul_hi_u32 v15, v7, v11
	v_mul_lo_u32 v11, v7, v11
	v_mul_hi_u32 v16, v7, v10
	v_mul_lo_u32 v10, v7, v10
	v_add_co_u32 v12, vcc_lo, v12, v13
	v_add_co_ci_u32_e32 v13, vcc_lo, 0, v14, vcc_lo
	v_add_co_u32 v11, vcc_lo, v12, v11
	v_add_co_ci_u32_e32 v11, vcc_lo, v13, v15, vcc_lo
	v_add_co_ci_u32_e32 v12, vcc_lo, 0, v16, vcc_lo
	v_add_co_u32 v10, vcc_lo, v11, v10
	v_add_co_ci_u32_e32 v11, vcc_lo, 0, v12, vcc_lo
	v_add_co_u32 v4, vcc_lo, v4, v10
	v_add_co_ci_u32_e32 v7, vcc_lo, v7, v11, vcc_lo
	v_mul_hi_u32 v10, s0, v4
	v_mul_lo_u32 v12, s26, v4
	v_mul_lo_u32 v11, s0, v7
	v_add_nc_u32_e32 v10, v10, v11
	v_mul_lo_u32 v11, s0, v4
	v_add_nc_u32_e32 v10, v10, v12
	v_mul_hi_u32 v12, v4, v11
	v_mul_lo_u32 v13, v4, v10
	v_mul_hi_u32 v14, v4, v10
	v_mul_hi_u32 v15, v7, v11
	v_mul_lo_u32 v11, v7, v11
	v_mul_hi_u32 v16, v7, v10
	v_mul_lo_u32 v10, v7, v10
	v_add_co_u32 v12, vcc_lo, v12, v13
	v_add_co_ci_u32_e32 v13, vcc_lo, 0, v14, vcc_lo
	v_add_co_u32 v11, vcc_lo, v12, v11
	v_add_co_ci_u32_e32 v11, vcc_lo, v13, v15, vcc_lo
	v_add_co_ci_u32_e32 v12, vcc_lo, 0, v16, vcc_lo
	v_add_co_u32 v10, vcc_lo, v11, v10
	v_add_co_ci_u32_e32 v11, vcc_lo, 0, v12, vcc_lo
	v_add_co_u32 v4, vcc_lo, v4, v10
	v_add_co_ci_u32_e32 v7, vcc_lo, v7, v11, vcc_lo
	v_mul_hi_u32 v16, v5, v4
	v_mad_u64_u32 v[12:13], null, v6, v4, 0
	v_mad_u64_u32 v[10:11], null, v5, v7, 0
	;; [unrolled: 1-line block ×3, first 2 shown]
	v_add_co_u32 v4, vcc_lo, v16, v10
	v_add_co_ci_u32_e32 v7, vcc_lo, 0, v11, vcc_lo
	v_add_co_u32 v4, vcc_lo, v4, v12
	v_add_co_ci_u32_e32 v4, vcc_lo, v7, v13, vcc_lo
	v_add_co_ci_u32_e32 v7, vcc_lo, 0, v15, vcc_lo
	v_add_co_u32 v4, vcc_lo, v4, v14
	v_add_co_ci_u32_e32 v7, vcc_lo, 0, v7, vcc_lo
	v_mul_lo_u32 v12, s25, v4
	v_mad_u64_u32 v[10:11], null, s24, v4, 0
	v_mul_lo_u32 v13, s24, v7
	v_sub_co_u32 v10, vcc_lo, v5, v10
	v_add3_u32 v11, v11, v13, v12
	v_sub_nc_u32_e32 v12, v6, v11
	v_subrev_co_ci_u32_e64 v12, s0, s25, v12, vcc_lo
	v_add_co_u32 v13, s0, v4, 2
	v_add_co_ci_u32_e64 v14, s0, 0, v7, s0
	v_sub_co_u32 v15, s0, v10, s24
	v_sub_co_ci_u32_e32 v11, vcc_lo, v6, v11, vcc_lo
	v_subrev_co_ci_u32_e64 v12, s0, 0, v12, s0
	v_cmp_le_u32_e32 vcc_lo, s24, v15
	v_cmp_eq_u32_e64 s0, s25, v11
	v_cndmask_b32_e64 v15, 0, -1, vcc_lo
	v_cmp_le_u32_e32 vcc_lo, s25, v12
	v_cndmask_b32_e64 v16, 0, -1, vcc_lo
	v_cmp_le_u32_e32 vcc_lo, s24, v10
	;; [unrolled: 2-line block ×3, first 2 shown]
	v_cndmask_b32_e64 v17, 0, -1, vcc_lo
	v_cmp_eq_u32_e32 vcc_lo, s25, v12
	v_cndmask_b32_e64 v10, v17, v10, s0
	v_cndmask_b32_e32 v12, v16, v15, vcc_lo
	v_add_co_u32 v15, vcc_lo, v4, 1
	v_add_co_ci_u32_e32 v16, vcc_lo, 0, v7, vcc_lo
	v_cmp_ne_u32_e32 vcc_lo, 0, v12
	v_cndmask_b32_e32 v11, v16, v14, vcc_lo
	v_cndmask_b32_e32 v12, v15, v13, vcc_lo
	v_cmp_ne_u32_e32 vcc_lo, 0, v10
	v_cndmask_b32_e32 v11, v7, v11, vcc_lo
	v_cndmask_b32_e32 v10, v4, v12, vcc_lo
.LBB0_4:                                ;   in Loop: Header=BB0_2 Depth=1
	s_andn2_saveexec_b32 s0, s1
	s_cbranch_execz .LBB0_6
; %bb.5:                                ;   in Loop: Header=BB0_2 Depth=1
	v_cvt_f32_u32_e32 v4, s24
	s_sub_i32 s1, 0, s24
	v_rcp_iflag_f32_e32 v4, v4
	v_mul_f32_e32 v4, 0x4f7ffffe, v4
	v_cvt_u32_f32_e32 v4, v4
	v_mul_lo_u32 v7, s1, v4
	v_mul_hi_u32 v7, v4, v7
	v_add_nc_u32_e32 v4, v4, v7
	v_mul_hi_u32 v4, v5, v4
	v_mul_lo_u32 v7, v4, s24
	v_add_nc_u32_e32 v10, 1, v4
	v_sub_nc_u32_e32 v7, v5, v7
	v_subrev_nc_u32_e32 v11, s24, v7
	v_cmp_le_u32_e32 vcc_lo, s24, v7
	v_cndmask_b32_e32 v7, v7, v11, vcc_lo
	v_cndmask_b32_e32 v4, v4, v10, vcc_lo
	v_mov_b32_e32 v11, v3
	v_cmp_le_u32_e32 vcc_lo, s24, v7
	v_add_nc_u32_e32 v10, 1, v4
	v_cndmask_b32_e32 v10, v4, v10, vcc_lo
.LBB0_6:                                ;   in Loop: Header=BB0_2 Depth=1
	s_or_b32 exec_lo, exec_lo, s0
	v_mul_lo_u32 v4, v11, s24
	v_mul_lo_u32 v7, v10, s25
	s_load_dwordx2 s[0:1], s[6:7], 0x0
	v_mad_u64_u32 v[12:13], null, v10, s24, 0
	s_load_dwordx2 s[24:25], s[2:3], 0x0
	s_add_u32 s22, s22, 1
	s_addc_u32 s23, s23, 0
	s_add_u32 s2, s2, 8
	s_addc_u32 s3, s3, 0
	s_add_u32 s6, s6, 8
	v_add3_u32 v4, v13, v7, v4
	v_sub_co_u32 v5, vcc_lo, v5, v12
	s_addc_u32 s7, s7, 0
	s_add_u32 s20, s20, 8
	v_sub_co_ci_u32_e32 v4, vcc_lo, v6, v4, vcc_lo
	s_addc_u32 s21, s21, 0
	s_waitcnt lgkmcnt(0)
	v_mul_lo_u32 v6, s0, v4
	v_mul_lo_u32 v7, s1, v5
	v_mad_u64_u32 v[1:2], null, s0, v5, v[1:2]
	v_mul_lo_u32 v4, s24, v4
	v_mul_lo_u32 v12, s25, v5
	v_mad_u64_u32 v[8:9], null, s24, v5, v[8:9]
	v_cmp_ge_u64_e64 s0, s[22:23], s[10:11]
	v_add3_u32 v2, v7, v2, v6
	v_add3_u32 v9, v12, v9, v4
	s_and_b32 vcc_lo, exec_lo, s0
	s_cbranch_vccnz .LBB0_9
; %bb.7:                                ;   in Loop: Header=BB0_2 Depth=1
	v_mov_b32_e32 v5, v10
	v_mov_b32_e32 v6, v11
	s_branch .LBB0_2
.LBB0_8:
	v_mov_b32_e32 v9, v2
	v_mov_b32_e32 v11, v6
	;; [unrolled: 1-line block ×4, first 2 shown]
.LBB0_9:
	s_load_dwordx2 s[0:1], s[4:5], 0x28
	v_mul_hi_u32 v38, 0x4104105, v0
	s_lshl_b64 s[4:5], s[10:11], 3
                                        ; implicit-def: $vgpr16
	s_add_u32 s2, s18, s4
	s_addc_u32 s3, s19, s5
	s_waitcnt lgkmcnt(0)
	v_cmp_gt_u64_e32 vcc_lo, s[0:1], v[10:11]
	v_cmp_le_u64_e64 s0, s[0:1], v[10:11]
	s_and_saveexec_b32 s1, s0
	s_xor_b32 s0, exec_lo, s1
; %bb.10:
	v_mul_u32_u24_e32 v1, 63, v38
                                        ; implicit-def: $vgpr38
	v_sub_nc_u32_e32 v16, v0, v1
                                        ; implicit-def: $vgpr0
                                        ; implicit-def: $vgpr1_vgpr2
; %bb.11:
	s_or_saveexec_b32 s1, s0
                                        ; implicit-def: $vgpr7
                                        ; implicit-def: $vgpr12
                                        ; implicit-def: $vgpr36
                                        ; implicit-def: $vgpr29
                                        ; implicit-def: $vgpr37
                                        ; implicit-def: $vgpr34
                                        ; implicit-def: $vgpr32
                                        ; implicit-def: $vgpr25
                                        ; implicit-def: $vgpr30
                                        ; implicit-def: $vgpr22
                                        ; implicit-def: $vgpr31
                                        ; implicit-def: $vgpr27
                                        ; implicit-def: $vgpr3
                                        ; implicit-def: $vgpr13
                                        ; implicit-def: $vgpr26
                                        ; implicit-def: $vgpr23
                                        ; implicit-def: $vgpr20
                                        ; implicit-def: $vgpr17
                                        ; implicit-def: $vgpr24
                                        ; implicit-def: $vgpr19
                                        ; implicit-def: $vgpr4
                                        ; implicit-def: $vgpr15
                                        ; implicit-def: $vgpr28
                                        ; implicit-def: $vgpr21
                                        ; implicit-def: $vgpr5
                                        ; implicit-def: $vgpr18
                                        ; implicit-def: $vgpr35
                                        ; implicit-def: $vgpr33
                                        ; implicit-def: $vgpr6
                                        ; implicit-def: $vgpr14
	s_xor_b32 exec_lo, exec_lo, s1
	s_cbranch_execz .LBB0_13
; %bb.12:
	s_add_u32 s4, s16, s4
	s_addc_u32 s5, s17, s5
	v_lshlrev_b64 v[1:2], 2, v[1:2]
	s_load_dwordx2 s[4:5], s[4:5], 0x0
	s_waitcnt lgkmcnt(0)
	v_mul_lo_u32 v5, s5, v10
	v_mul_lo_u32 v6, s4, v11
	v_mad_u64_u32 v[3:4], null, s4, v10, 0
	v_add3_u32 v4, v4, v6, v5
	v_mul_u32_u24_e32 v5, 63, v38
	v_lshlrev_b64 v[3:4], 2, v[3:4]
	v_sub_nc_u32_e32 v16, v0, v5
	v_add_co_u32 v0, s0, s12, v3
	v_add_co_ci_u32_e64 v3, s0, s13, v4, s0
	v_lshlrev_b32_e32 v4, 2, v16
	v_add_co_u32 v0, s0, v0, v1
	v_add_co_ci_u32_e64 v1, s0, v3, v2, s0
	v_add_co_u32 v0, s0, v0, v4
	v_add_co_ci_u32_e64 v1, s0, 0, v1, s0
	;; [unrolled: 2-line block ×3, first 2 shown]
	s_clause 0xe
	global_load_dword v12, v[0:1], off
	global_load_dword v14, v[0:1], off offset:252
	global_load_dword v29, v[0:1], off offset:1260
	;; [unrolled: 1-line block ×14, first 2 shown]
	s_waitcnt vmcnt(14)
	v_lshrrev_b32_e32 v7, 16, v12
	s_waitcnt vmcnt(13)
	v_lshrrev_b32_e32 v6, 16, v14
	;; [unrolled: 2-line block ×15, first 2 shown]
.LBB0_13:
	s_or_b32 exec_lo, exec_lo, s1
	v_add_f16_e32 v0, v29, v34
	v_add_f16_e32 v38, v36, v37
	;; [unrolled: 1-line block ×3, first 2 shown]
	v_sub_f16_e32 v2, v36, v37
	v_sub_f16_e32 v29, v29, v34
	v_fmac_f16_e32 v12, -0.5, v0
	v_add_f16_e32 v0, v7, v36
	v_fmac_f16_e32 v7, -0.5, v38
	v_add_f16_e32 v1, v1, v34
	v_add_f16_e32 v36, v25, v14
	v_fmamk_f16 v34, v2, 0xbaee, v12
	v_fmac_f16_e32 v12, 0x3aee, v2
	v_add_f16_e32 v2, v25, v33
	v_fmamk_f16 v40, v29, 0x3aee, v7
	v_fmac_f16_e32 v7, 0xbaee, v29
	v_add_f16_e32 v29, v32, v35
	v_sub_f16_e32 v25, v25, v33
	v_fmac_f16_e32 v14, -0.5, v2
	v_sub_f16_e32 v2, v32, v35
	v_add_f16_e32 v32, v32, v6
	v_fmac_f16_e32 v6, -0.5, v29
	v_add_f16_e32 v36, v33, v36
	v_add_f16_e32 v33, v22, v18
	v_fmamk_f16 v29, v2, 0xbaee, v14
	v_fmac_f16_e32 v14, 0x3aee, v2
	v_add_f16_e32 v2, v35, v32
	v_add_f16_e32 v32, v22, v27
	v_fmamk_f16 v35, v25, 0x3aee, v6
	v_fmac_f16_e32 v6, 0xbaee, v25
	v_add_f16_e32 v25, v30, v31
	v_sub_f16_e32 v22, v22, v27
	v_fmac_f16_e32 v18, -0.5, v32
	v_sub_f16_e32 v32, v30, v31
	v_add_f16_e32 v30, v30, v5
	v_fmac_f16_e32 v5, -0.5, v25
	v_add_f16_e32 v33, v27, v33
	v_add_f16_e32 v27, v23, v21
	s_load_dwordx2 s[2:3], s[2:3], 0x0
	v_add_f16_e32 v41, v31, v30
	v_fmamk_f16 v42, v22, 0x3aee, v5
	v_fmac_f16_e32 v5, 0xbaee, v22
	v_add_f16_e32 v22, v26, v28
	v_add_f16_e32 v30, v13, v21
	v_fmac_f16_e32 v13, -0.5, v27
	v_sub_f16_e32 v27, v28, v26
	v_add_f16_e32 v28, v3, v28
	v_fmac_f16_e32 v3, -0.5, v22
	v_sub_f16_e32 v21, v21, v23
	v_add_f16_e32 v30, v23, v30
	v_add_f16_e32 v23, v17, v19
	;; [unrolled: 1-line block ×4, first 2 shown]
	v_fmamk_f16 v43, v21, 0x3aee, v3
	v_fmac_f16_e32 v3, 0xbaee, v21
	v_add_f16_e32 v21, v20, v24
	v_fmac_f16_e32 v15, -0.5, v23
	v_sub_f16_e32 v23, v24, v20
	v_add_f16_e32 v24, v24, v4
	v_fmamk_f16 v22, v27, 0xbaee, v13
	v_fmac_f16_e32 v4, -0.5, v21
	v_mad_u32_u24 v21, v16, 6, 0
	v_fmac_f16_e32 v13, 0x3aee, v27
	v_add_f16_e32 v26, v17, v26
	ds_write_b16 v21, v1
	ds_write_b16 v21, v34 offset:2
	ds_write_b16 v21, v12 offset:4
	;; [unrolled: 1-line block ×5, first 2 shown]
	v_lshlrev_b32_e32 v1, 2, v16
	v_fmamk_f16 v25, v32, 0xbaee, v18
	v_sub_f16_e32 v17, v19, v17
	v_fmamk_f16 v19, v23, 0xbaee, v15
	v_fmac_f16_e32 v18, 0x3aee, v32
	v_add_f16_e32 v0, v0, v37
	v_fmac_f16_e32 v15, 0x3aee, v23
	ds_write_b16 v21, v33 offset:756
	ds_write_b16 v21, v25 offset:758
	;; [unrolled: 1-line block ×8, first 2 shown]
	v_sub_nc_u32_e32 v14, v21, v1
	v_and_b32_e32 v19, 0xff, v16
	v_add_f16_e32 v20, v20, v24
	v_add_nc_u32_e32 v22, 0xfc, v16
	ds_write_b16 v21, v15 offset:1516
	s_waitcnt lgkmcnt(0)
	s_barrier
	buffer_gl0_inv
	ds_read_u16 v29, v14 offset:882
	ds_read_u16 v27, v14
	ds_read_u16 v26, v14 offset:126
	ds_read_u16 v24, v14 offset:252
	;; [unrolled: 1-line block ×13, first 2 shown]
	s_waitcnt lgkmcnt(0)
	s_barrier
	buffer_gl0_inv
	ds_write_b16 v21, v0
	ds_write_b16 v21, v40 offset:2
	ds_write_b16 v21, v7 offset:4
	;; [unrolled: 1-line block ×3, first 2 shown]
	v_mul_lo_u16 v0, 0xab, v19
	v_mov_b32_e32 v1, 0xaaab
	v_fmamk_f16 v44, v17, 0x3aee, v4
	v_fmac_f16_e32 v4, 0xbaee, v17
	v_add_nc_u32_e32 v17, 0x7e, v16
	v_lshrrev_b16 v40, 9, v0
	v_mul_u32_u24_sdwa v0, v22, v1 dst_sel:DWORD dst_unused:UNUSED_PAD src0_sel:WORD_0 src1_sel:DWORD
	ds_write_b16 v21, v35 offset:380
	ds_write_b16 v21, v6 offset:382
	;; [unrolled: 1-line block ×4, first 2 shown]
	v_add_nc_u16 v18, v16, 63
	ds_write_b16 v21, v5 offset:760
	ds_write_b16 v21, v28 offset:1134
	;; [unrolled: 1-line block ×3, first 2 shown]
	v_lshrrev_b32_e32 v41, 17, v0
	ds_write_b16 v21, v20 offset:1512
	v_and_b32_e32 v20, 0xff, v17
	v_add_nc_u16 v35, v16, 0xbd
	ds_write_b16 v21, v3 offset:1138
	v_mul_lo_u16 v0, v41, 3
	v_mul_lo_u16 v1, v40, 3
	ds_write_b16 v21, v44 offset:1514
	ds_write_b16 v21, v4 offset:1516
	v_and_b32_e32 v21, 0xff, v18
	v_sub_nc_u16 v45, v22, v0
	v_mul_lo_u16 v0, 0xab, v20
	v_and_b32_e32 v42, 0xff, v35
	v_sub_nc_u16 v44, v16, v1
	v_mul_lo_u16 v1, 0xab, v21
	v_mov_b32_e32 v28, 3
	v_lshrrev_b16 v46, 9, v0
	v_mul_lo_u16 v0, 0xab, v42
	s_waitcnt lgkmcnt(0)
	v_lshrrev_b16 v43, 9, v1
	v_lshlrev_b32_sdwa v2, v28, v44 dst_sel:DWORD dst_unused:UNUSED_PAD src0_sel:DWORD src1_sel:BYTE_0
	v_lshlrev_b32_sdwa v1, v28, v45 dst_sel:DWORD dst_unused:UNUSED_PAD src0_sel:DWORD src1_sel:WORD_0
	v_lshrrev_b16 v47, 9, v0
	s_barrier
	v_mul_lo_u16 v3, v43, 3
	buffer_gl0_inv
	s_clause 0x1
	global_load_dwordx2 v[12:13], v2, s[8:9]
	global_load_dwordx2 v[6:7], v1, s[8:9]
	v_mul_lo_u16 v1, v46, 3
	v_mul_lo_u16 v0, v47, 3
	v_sub_nc_u16 v48, v18, v3
	v_mul_lo_u16 v54, v21, 57
	v_mov_b32_e32 v15, 1
	v_sub_nc_u16 v49, v17, v1
	v_sub_nc_u16 v50, v35, v0
	v_lshlrev_b32_sdwa v1, v28, v48 dst_sel:DWORD dst_unused:UNUSED_PAD src0_sel:DWORD src1_sel:BYTE_0
	v_mov_b32_e32 v53, 18
	v_mul_lo_u16 v55, v20, 57
	v_lshlrev_b32_sdwa v2, v28, v49 dst_sel:DWORD dst_unused:UNUSED_PAD src0_sel:DWORD src1_sel:BYTE_0
	v_lshlrev_b32_sdwa v0, v28, v50 dst_sel:DWORD dst_unused:UNUSED_PAD src0_sel:DWORD src1_sel:BYTE_0
	s_clause 0x2
	global_load_dwordx2 v[4:5], v1, s[8:9]
	global_load_dwordx2 v[2:3], v2, s[8:9]
	;; [unrolled: 1-line block ×3, first 2 shown]
	ds_read_u16 v57, v14 offset:1386
	ds_read_u16 v58, v14 offset:1512
	;; [unrolled: 1-line block ×6, first 2 shown]
	ds_read_u16 v63, v14
	ds_read_u16 v64, v14 offset:126
	ds_read_u16 v65, v14 offset:252
	;; [unrolled: 1-line block ×8, first 2 shown]
	v_mul_u32_u24_e32 v73, 18, v41
	v_lshrrev_b16 v41, 9, v54
	v_mul_lo_u16 v56, v42, 57
	v_mul_u32_u24_sdwa v72, v40, v53 dst_sel:DWORD dst_unused:UNUSED_PAD src0_sel:WORD_0 src1_sel:DWORD
	v_lshrrev_b16 v42, 9, v55
	v_mul_u32_u24_sdwa v54, v43, v53 dst_sel:DWORD dst_unused:UNUSED_PAD src0_sel:WORD_0 src1_sel:DWORD
	v_mul_u32_u24_sdwa v46, v46, v53 dst_sel:DWORD dst_unused:UNUSED_PAD src0_sel:WORD_0 src1_sel:DWORD
	;; [unrolled: 1-line block ×3, first 2 shown]
	v_mul_lo_u16 v53, v41, 9
	v_lshlrev_b32_sdwa v55, v15, v44 dst_sel:DWORD dst_unused:UNUSED_PAD src0_sel:DWORD src1_sel:BYTE_0
	v_lshlrev_b32_sdwa v49, v15, v49 dst_sel:DWORD dst_unused:UNUSED_PAD src0_sel:DWORD src1_sel:BYTE_0
	;; [unrolled: 1-line block ×3, first 2 shown]
	v_lshlrev_b32_sdwa v45, v15, v45 dst_sel:DWORD dst_unused:UNUSED_PAD src0_sel:DWORD src1_sel:WORD_0
	v_lshlrev_b32_sdwa v48, v15, v48 dst_sel:DWORD dst_unused:UNUSED_PAD src0_sel:DWORD src1_sel:BYTE_0
	v_sub_nc_u16 v44, v18, v53
	v_add3_u32 v53, 0, v72, v55
	v_add3_u32 v46, 0, v46, v49
	;; [unrolled: 1-line block ×5, first 2 shown]
	v_mul_lo_u16 v52, v19, 57
	v_mov_b32_e32 v51, 0xe38f
	s_waitcnt vmcnt(0) lgkmcnt(0)
	s_barrier
	buffer_gl0_inv
	v_lshrrev_b16 v52, 9, v52
	v_mul_u32_u24_sdwa v51, v22, v51 dst_sel:DWORD dst_unused:UNUSED_PAD src0_sel:WORD_0 src1_sel:DWORD
	v_lshrrev_b16 v40, 9, v56
	v_mul_lo_u16 v56, v42, 9
	v_mul_lo_u16 v19, v19, 19
	;; [unrolled: 1-line block ×4, first 2 shown]
	v_cmp_gt_u32_e64 s0, 9, v16
	v_lshrrev_b16 v19, 9, v19
	v_sub_nc_u16 v43, v16, v74
	v_lshlrev_b32_sdwa v74, v28, v43 dst_sel:DWORD dst_unused:UNUSED_PAD src0_sel:DWORD src1_sel:BYTE_0
	v_mul_f16_sdwa v49, v66, v12 dst_sel:DWORD dst_unused:UNUSED_PAD src0_sel:DWORD src1_sel:WORD_1
	v_mul_f16_sdwa v50, v36, v12 dst_sel:DWORD dst_unused:UNUSED_PAD src0_sel:DWORD src1_sel:WORD_1
	;; [unrolled: 1-line block ×8, first 2 shown]
	v_fmac_f16_e32 v49, v36, v12
	v_fma_f16 v12, v66, v12, -v50
	v_fmac_f16_e32 v72, v38, v6
	v_fmac_f16_e32 v75, v37, v7
	v_fma_f16 v7, v60, v7, -v76
	v_fmac_f16_e32 v54, v39, v13
	v_mul_f16_sdwa v36, v61, v4 dst_sel:DWORD dst_unused:UNUSED_PAD src0_sel:DWORD src1_sel:WORD_1
	v_mul_f16_sdwa v38, v57, v5 dst_sel:DWORD dst_unused:UNUSED_PAD src0_sel:DWORD src1_sel:WORD_1
	;; [unrolled: 1-line block ×3, first 2 shown]
	v_fma_f16 v13, v69, v13, -v55
	v_fma_f16 v6, v70, v6, -v73
	v_mul_f16_sdwa v37, v33, v4 dst_sel:DWORD dst_unused:UNUSED_PAD src0_sel:DWORD src1_sel:WORD_1
	v_mul_f16_sdwa v39, v34, v5 dst_sel:DWORD dst_unused:UNUSED_PAD src0_sel:DWORD src1_sel:WORD_1
	;; [unrolled: 1-line block ×9, first 2 shown]
	v_fmac_f16_e32 v36, v33, v4
	v_fmac_f16_e32 v38, v34, v5
	;; [unrolled: 1-line block ×3, first 2 shown]
	v_add_f16_e32 v32, v63, v12
	v_fma_f16 v4, v61, v4, -v37
	v_fma_f16 v5, v57, v5, -v39
	v_fmac_f16_e32 v50, v29, v2
	v_fmac_f16_e32 v69, v30, v0
	;; [unrolled: 1-line block ×3, first 2 shown]
	v_add_f16_e32 v29, v27, v49
	v_add_f16_e32 v30, v49, v54
	v_sub_f16_e32 v33, v49, v54
	v_add_f16_e32 v34, v25, v72
	v_add_f16_e32 v37, v72, v75
	;; [unrolled: 1-line block ×3, first 2 shown]
	v_fma_f16 v2, v62, v2, -v55
	v_fma_f16 v3, v58, v3, -v66
	v_fma_f16 v0, v71, v0, -v70
	v_fma_f16 v1, v59, v1, -v76
	v_sub_f16_e32 v31, v12, v13
	v_add_f16_e32 v12, v12, v13
	v_add_f16_e32 v13, v32, v13
	;; [unrolled: 1-line block ×3, first 2 shown]
	v_sub_f16_e32 v39, v6, v7
	v_add_f16_e32 v6, v6, v7
	v_fmac_f16_e32 v27, -0.5, v30
	v_add_f16_e32 v30, v34, v75
	v_fmac_f16_e32 v25, -0.5, v37
	v_sub_f16_e32 v34, v4, v5
	v_add_f16_e32 v7, v49, v7
	v_add_f16_e32 v37, v64, v4
	;; [unrolled: 1-line block ×6, first 2 shown]
	v_sub_f16_e32 v54, v2, v3
	v_add_f16_e32 v57, v65, v2
	v_add_f16_e32 v2, v2, v3
	v_sub_f16_e32 v61, v0, v1
	v_add_f16_e32 v62, v68, v0
	v_add_f16_e32 v0, v0, v1
	v_fmac_f16_e32 v63, -0.5, v12
	v_add_f16_e32 v12, v26, v36
	v_fmac_f16_e32 v26, -0.5, v32
	v_sub_f16_e32 v36, v36, v38
	v_fmac_f16_e32 v67, -0.5, v6
	v_add_f16_e32 v6, v24, v50
	v_add_f16_e32 v58, v23, v69
	v_fmac_f16_e32 v64, -0.5, v4
	v_fmac_f16_e32 v24, -0.5, v49
	v_fmac_f16_e32 v23, -0.5, v59
	v_sub_f16_e32 v55, v72, v75
	v_sub_f16_e32 v50, v50, v60
	;; [unrolled: 1-line block ×3, first 2 shown]
	v_fmamk_f16 v69, v31, 0xbaee, v27
	v_fmac_f16_e32 v65, -0.5, v2
	v_fmac_f16_e32 v68, -0.5, v0
	v_fmac_f16_e32 v27, 0x3aee, v31
	v_fmamk_f16 v70, v33, 0x3aee, v63
	v_fmac_f16_e32 v63, 0xbaee, v33
	v_add_f16_e32 v12, v12, v38
	v_add_f16_e32 v5, v37, v5
	ds_write_b16 v53, v29
	v_fmamk_f16 v29, v34, 0xbaee, v26
	v_fmamk_f16 v0, v39, 0xbaee, v25
	v_fmac_f16_e32 v25, 0x3aee, v39
	v_fmac_f16_e32 v26, 0x3aee, v34
	v_fmamk_f16 v49, v36, 0x3aee, v64
	v_fmamk_f16 v31, v54, 0xbaee, v24
	v_fmac_f16_e32 v24, 0x3aee, v54
	v_fmamk_f16 v32, v61, 0xbaee, v23
	v_fmac_f16_e32 v23, 0x3aee, v61
	v_add_f16_e32 v4, v6, v60
	v_add_f16_e32 v3, v57, v3
	v_add_f16_e32 v2, v58, v73
	v_add_f16_e32 v1, v62, v1
	v_fmamk_f16 v6, v55, 0x3aee, v67
	v_fmac_f16_e32 v67, 0xbaee, v55
	v_fmac_f16_e32 v64, 0xbaee, v36
	v_fmamk_f16 v54, v50, 0x3aee, v65
	v_fmac_f16_e32 v65, 0xbaee, v50
	v_fmamk_f16 v50, v66, 0x3aee, v68
	v_fmac_f16_e32 v68, 0xbaee, v66
	ds_write_b16 v53, v69 offset:6
	ds_write_b16 v53, v27 offset:12
	ds_write_b16 v48, v12
	ds_write_b16 v48, v29 offset:6
	ds_write_b16 v48, v26 offset:12
	ds_write_b16 v46, v4
	ds_write_b16 v46, v31 offset:6
	ds_write_b16 v46, v24 offset:12
	ds_write_b16 v47, v2
	ds_write_b16 v47, v32 offset:6
	ds_write_b16 v47, v23 offset:12
	ds_write_b16 v45, v30
	ds_write_b16 v45, v0 offset:6
	ds_write_b16 v45, v25 offset:12
	s_waitcnt lgkmcnt(0)
	s_barrier
	buffer_gl0_inv
	ds_read_u16 v29, v14 offset:882
	ds_read_u16 v27, v14
	ds_read_u16 v26, v14 offset:126
	ds_read_u16 v25, v14 offset:252
	;; [unrolled: 1-line block ×13, first 2 shown]
	s_waitcnt lgkmcnt(0)
	s_barrier
	buffer_gl0_inv
	ds_write_b16 v53, v13
	ds_write_b16 v53, v70 offset:6
	ds_write_b16 v53, v63 offset:12
	ds_write_b16 v48, v5
	ds_write_b16 v48, v49 offset:6
	ds_write_b16 v48, v64 offset:12
	;; [unrolled: 3-line block ×5, first 2 shown]
	v_lshrrev_b32_e32 v45, 19, v51
	v_mul_lo_u16 v2, v40, 9
	v_sub_nc_u16 v46, v17, v56
	v_lshlrev_b32_sdwa v3, v28, v44 dst_sel:DWORD dst_unused:UNUSED_PAD src0_sel:DWORD src1_sel:BYTE_0
	s_waitcnt lgkmcnt(0)
	v_mul_lo_u16 v6, v45, 9
	v_sub_nc_u16 v35, v35, v2
	v_lshlrev_b32_sdwa v2, v28, v46 dst_sel:DWORD dst_unused:UNUSED_PAD src0_sel:DWORD src1_sel:BYTE_0
	s_barrier
	buffer_gl0_inv
	v_sub_nc_u16 v22, v22, v6
	s_clause 0x2
	global_load_dwordx2 v[0:1], v74, s[8:9] offset:24
	global_load_dwordx2 v[4:5], v3, s[8:9] offset:24
	;; [unrolled: 1-line block ×3, first 2 shown]
	v_lshlrev_b32_sdwa v3, v28, v35 dst_sel:DWORD dst_unused:UNUSED_PAD src0_sel:DWORD src1_sel:BYTE_0
	v_lshlrev_b32_sdwa v2, v28, v22 dst_sel:DWORD dst_unused:UNUSED_PAD src0_sel:DWORD src1_sel:WORD_0
	s_clause 0x1
	global_load_dwordx2 v[12:13], v3, s[8:9] offset:24
	global_load_dwordx2 v[2:3], v2, s[8:9] offset:24
	v_mov_b32_e32 v28, 54
	v_mul_lo_u16 v48, v20, 19
	v_mul_lo_u16 v50, v19, 27
	v_lshrrev_b16 v20, 9, v21
	v_mul_u32_u24_e32 v21, 54, v45
	v_mul_u32_u24_sdwa v41, v41, v28 dst_sel:DWORD dst_unused:UNUSED_PAD src0_sel:WORD_0 src1_sel:DWORD
	v_lshlrev_b32_sdwa v22, v15, v22 dst_sel:DWORD dst_unused:UNUSED_PAD src0_sel:DWORD src1_sel:WORD_0
	v_lshlrev_b32_sdwa v44, v15, v44 dst_sel:DWORD dst_unused:UNUSED_PAD src0_sel:DWORD src1_sel:BYTE_0
	v_mul_u32_u24_sdwa v49, v52, v28 dst_sel:DWORD dst_unused:UNUSED_PAD src0_sel:WORD_0 src1_sel:DWORD
	v_lshrrev_b16 v45, 9, v48
	v_mul_u32_u24_sdwa v42, v42, v28 dst_sel:DWORD dst_unused:UNUSED_PAD src0_sel:WORD_0 src1_sel:DWORD
	v_sub_nc_u16 v48, v16, v50
	v_mul_lo_u16 v50, v20, 27
	v_mul_u32_u24_sdwa v28, v40, v28 dst_sel:DWORD dst_unused:UNUSED_PAD src0_sel:WORD_0 src1_sel:DWORD
	v_lshlrev_b32_sdwa v40, v15, v43 dst_sel:DWORD dst_unused:UNUSED_PAD src0_sel:DWORD src1_sel:BYTE_0
	v_lshlrev_b32_sdwa v46, v15, v46 dst_sel:DWORD dst_unused:UNUSED_PAD src0_sel:DWORD src1_sel:BYTE_0
	;; [unrolled: 1-line block ×3, first 2 shown]
	v_add3_u32 v21, 0, v21, v22
	v_add3_u32 v22, 0, v41, v44
	ds_read_u16 v41, v14 offset:630
	ds_read_u16 v44, v14 offset:1260
	v_sub_nc_u16 v18, v18, v50
	v_add3_u32 v40, 0, v49, v40
	v_add3_u32 v42, 0, v42, v46
	;; [unrolled: 1-line block ×3, first 2 shown]
	ds_read_u16 v35, v14 offset:756
	ds_read_u16 v46, v14 offset:882
	;; [unrolled: 1-line block ×4, first 2 shown]
	ds_read_u16 v51, v14
	ds_read_u16 v52, v14 offset:126
	ds_read_u16 v53, v14 offset:252
	;; [unrolled: 1-line block ×8, first 2 shown]
	v_mov_b32_e32 v47, 4
	s_waitcnt vmcnt(0) lgkmcnt(0)
	s_barrier
	buffer_gl0_inv
	v_lshlrev_b32_sdwa v43, v47, v48 dst_sel:DWORD dst_unused:UNUSED_PAD src0_sel:DWORD src1_sel:BYTE_0
	v_mul_f16_sdwa v60, v41, v0 dst_sel:DWORD dst_unused:UNUSED_PAD src0_sel:DWORD src1_sel:WORD_1
	v_mul_f16_sdwa v62, v44, v1 dst_sel:DWORD dst_unused:UNUSED_PAD src0_sel:DWORD src1_sel:WORD_1
	v_mul_f16_sdwa v64, v35, v4 dst_sel:DWORD dst_unused:UNUSED_PAD src0_sel:DWORD src1_sel:WORD_1
	v_mul_f16_sdwa v66, v49, v5 dst_sel:DWORD dst_unused:UNUSED_PAD src0_sel:DWORD src1_sel:WORD_1
	v_mul_f16_sdwa v61, v38, v0 dst_sel:DWORD dst_unused:UNUSED_PAD src0_sel:DWORD src1_sel:WORD_1
	v_mul_f16_sdwa v63, v39, v1 dst_sel:DWORD dst_unused:UNUSED_PAD src0_sel:DWORD src1_sel:WORD_1
	v_mul_f16_sdwa v68, v46, v6 dst_sel:DWORD dst_unused:UNUSED_PAD src0_sel:DWORD src1_sel:WORD_1
	v_mul_f16_sdwa v70, v50, v7 dst_sel:DWORD dst_unused:UNUSED_PAD src0_sel:DWORD src1_sel:WORD_1
	v_mul_f16_sdwa v72, v55, v12 dst_sel:DWORD dst_unused:UNUSED_PAD src0_sel:DWORD src1_sel:WORD_1
	v_mul_f16_sdwa v74, v57, v13 dst_sel:DWORD dst_unused:UNUSED_PAD src0_sel:DWORD src1_sel:WORD_1
	v_mul_f16_sdwa v76, v59, v2 dst_sel:DWORD dst_unused:UNUSED_PAD src0_sel:DWORD src1_sel:WORD_1
	v_mul_f16_sdwa v78, v58, v3 dst_sel:DWORD dst_unused:UNUSED_PAD src0_sel:DWORD src1_sel:WORD_1
	v_mul_f16_sdwa v77, v33, v2 dst_sel:DWORD dst_unused:UNUSED_PAD src0_sel:DWORD src1_sel:WORD_1
	v_mul_f16_sdwa v79, v31, v3 dst_sel:DWORD dst_unused:UNUSED_PAD src0_sel:DWORD src1_sel:WORD_1
	v_fmac_f16_e32 v60, v38, v0
	v_fmac_f16_e32 v62, v39, v1
	v_mul_f16_sdwa v65, v36, v4 dst_sel:DWORD dst_unused:UNUSED_PAD src0_sel:DWORD src1_sel:WORD_1
	v_mul_f16_sdwa v67, v37, v5 dst_sel:DWORD dst_unused:UNUSED_PAD src0_sel:DWORD src1_sel:WORD_1
	v_fmac_f16_e32 v64, v36, v4
	v_fmac_f16_e32 v66, v37, v5
	v_mul_f16_sdwa v69, v29, v6 dst_sel:DWORD dst_unused:UNUSED_PAD src0_sel:DWORD src1_sel:WORD_1
	v_mul_f16_sdwa v71, v34, v7 dst_sel:DWORD dst_unused:UNUSED_PAD src0_sel:DWORD src1_sel:WORD_1
	;; [unrolled: 1-line block ×4, first 2 shown]
	v_fma_f16 v0, v41, v0, -v61
	v_fma_f16 v1, v44, v1, -v63
	v_fmac_f16_e32 v68, v29, v6
	v_fmac_f16_e32 v70, v34, v7
	v_fmac_f16_e32 v72, v30, v12
	v_fmac_f16_e32 v74, v32, v13
	v_fmac_f16_e32 v76, v33, v2
	v_fmac_f16_e32 v78, v31, v3
	v_fma_f16 v2, v59, v2, -v77
	v_fma_f16 v3, v58, v3, -v79
	v_add_f16_e32 v30, v60, v62
	v_fma_f16 v4, v35, v4, -v65
	v_fma_f16 v5, v49, v5, -v67
	v_add_f16_e32 v35, v64, v66
	v_fma_f16 v6, v46, v6, -v69
	v_fma_f16 v7, v50, v7, -v71
	;; [unrolled: 1-line block ×4, first 2 shown]
	v_add_f16_e32 v29, v27, v60
	v_sub_f16_e32 v31, v0, v1
	v_add_f16_e32 v32, v51, v0
	v_add_f16_e32 v0, v0, v1
	;; [unrolled: 1-line block ×6, first 2 shown]
	v_sub_f16_e32 v38, v64, v66
	v_sub_f16_e32 v63, v2, v3
	v_add_f16_e32 v64, v56, v2
	v_add_f16_e32 v2, v2, v3
	v_fmac_f16_e32 v27, -0.5, v30
	v_sub_f16_e32 v36, v4, v5
	v_add_f16_e32 v37, v52, v4
	v_add_f16_e32 v4, v4, v5
	v_fmac_f16_e32 v26, -0.5, v35
	v_sub_f16_e32 v33, v60, v62
	v_add_f16_e32 v39, v25, v68
	v_sub_f16_e32 v44, v6, v7
	v_add_f16_e32 v46, v53, v6
	v_add_f16_e32 v6, v6, v7
	v_add_f16_e32 v50, v23, v72
	v_sub_f16_e32 v57, v12, v13
	v_add_f16_e32 v58, v54, v12
	v_add_f16_e32 v12, v12, v13
	;; [unrolled: 1-line block ×4, first 2 shown]
	v_fmac_f16_e32 v51, -0.5, v0
	v_fmac_f16_e32 v25, -0.5, v41
	;; [unrolled: 1-line block ×5, first 2 shown]
	v_fmamk_f16 v2, v31, 0xbaee, v27
	v_fmac_f16_e32 v27, 0x3aee, v31
	v_add_f16_e32 v0, v34, v66
	v_fmac_f16_e32 v52, -0.5, v4
	v_fmamk_f16 v31, v36, 0xbaee, v26
	v_sub_f16_e32 v49, v68, v70
	v_sub_f16_e32 v59, v72, v74
	;; [unrolled: 1-line block ×3, first 2 shown]
	v_add_f16_e32 v1, v32, v1
	v_add_f16_e32 v5, v37, v5
	;; [unrolled: 1-line block ×3, first 2 shown]
	v_fmac_f16_e32 v53, -0.5, v6
	v_add_f16_e32 v6, v50, v74
	v_fmac_f16_e32 v54, -0.5, v12
	v_add_f16_e32 v12, v60, v78
	v_fmamk_f16 v30, v33, 0x3aee, v51
	v_fmac_f16_e32 v51, 0xbaee, v33
	v_fmac_f16_e32 v26, 0x3aee, v36
	v_fmamk_f16 v33, v44, 0xbaee, v25
	v_fmac_f16_e32 v25, 0x3aee, v44
	v_fmamk_f16 v35, v57, 0xbaee, v23
	;; [unrolled: 2-line block ×3, first 2 shown]
	v_fmac_f16_e32 v24, 0x3aee, v63
	ds_write_b16 v40, v29
	ds_write_b16 v40, v2 offset:18
	ds_write_b16 v40, v27 offset:36
	ds_write_b16 v22, v0
	ds_write_b16 v22, v31 offset:18
	ds_write_b16 v22, v26 offset:36
	;; [unrolled: 3-line block ×5, first 2 shown]
	v_mul_lo_u16 v0, v45, 27
	v_fmamk_f16 v32, v38, 0x3aee, v52
	v_add_f16_e32 v7, v46, v7
	v_add_f16_e32 v13, v58, v13
	;; [unrolled: 1-line block ×3, first 2 shown]
	v_fmac_f16_e32 v52, 0xbaee, v38
	v_fmamk_f16 v34, v49, 0x3aee, v53
	v_fmac_f16_e32 v53, 0xbaee, v49
	v_fmamk_f16 v36, v59, 0x3aee, v54
	;; [unrolled: 2-line block ×3, first 2 shown]
	v_fmac_f16_e32 v56, 0xbaee, v65
	s_waitcnt lgkmcnt(0)
	s_barrier
	buffer_gl0_inv
	ds_read_u16 v37, v14
	ds_read_u16 v39, v14 offset:126
	ds_read_u16 v12, v14 offset:882
	;; [unrolled: 1-line block ×14, first 2 shown]
	s_waitcnt lgkmcnt(0)
	s_barrier
	buffer_gl0_inv
	ds_write_b16 v40, v1
	ds_write_b16 v40, v30 offset:18
	ds_write_b16 v40, v51 offset:36
	ds_write_b16 v22, v5
	ds_write_b16 v22, v32 offset:18
	ds_write_b16 v22, v52 offset:36
	;; [unrolled: 3-line block ×5, first 2 shown]
	v_lshlrev_b32_sdwa v1, v47, v18 dst_sel:DWORD dst_unused:UNUSED_PAD src0_sel:DWORD src1_sel:BYTE_0
	v_sub_nc_u16 v0, v17, v0
	s_waitcnt lgkmcnt(0)
	s_barrier
	buffer_gl0_inv
	global_load_dwordx4 v[29:32], v1, s[8:9] offset:96
	v_lshlrev_b32_sdwa v1, v47, v0 dst_sel:DWORD dst_unused:UNUSED_PAD src0_sel:DWORD src1_sel:BYTE_0
	global_load_dwordx4 v[21:24], v43, s[8:9] offset:96
	v_lshlrev_b32_sdwa v3, v15, v48 dst_sel:DWORD dst_unused:UNUSED_PAD src0_sel:DWORD src1_sel:BYTE_0
	v_lshlrev_b32_sdwa v5, v15, v18 dst_sel:DWORD dst_unused:UNUSED_PAD src0_sel:DWORD src1_sel:BYTE_0
	;; [unrolled: 1-line block ×3, first 2 shown]
	global_load_dwordx4 v[33:36], v1, s[8:9] offset:96
	v_mov_b32_e32 v1, 0x10e
	ds_read_u16 v13, v14 offset:378
	ds_read_u16 v15, v14 offset:756
	v_mul_u32_u24_sdwa v2, v19, v1 dst_sel:DWORD dst_unused:UNUSED_PAD src0_sel:WORD_0 src1_sel:DWORD
	v_mul_u32_u24_sdwa v4, v20, v1 dst_sel:DWORD dst_unused:UNUSED_PAD src0_sel:WORD_0 src1_sel:DWORD
	;; [unrolled: 1-line block ×3, first 2 shown]
	v_add3_u32 v2, 0, v2, v3
	v_add3_u32 v1, 0, v4, v5
	ds_read_u16 v18, v14 offset:1134
	ds_read_u16 v19, v14 offset:1512
	ds_read_u16 v5, v14
	ds_read_u16 v3, v14 offset:126
	ds_read_u16 v20, v14 offset:504
	;; [unrolled: 1-line block ×10, first 2 shown]
	v_add3_u32 v0, 0, v6, v0
	s_waitcnt vmcnt(0) lgkmcnt(0)
	s_barrier
	buffer_gl0_inv
	v_mul_f16_sdwa v48, v20, v29 dst_sel:DWORD dst_unused:UNUSED_PAD src0_sel:DWORD src1_sel:WORD_1
	v_mul_f16_sdwa v46, v38, v30 dst_sel:DWORD dst_unused:UNUSED_PAD src0_sel:DWORD src1_sel:WORD_1
	;; [unrolled: 1-line block ×14, first 2 shown]
	v_fmac_f16_e32 v51, v25, v22
	v_fmac_f16_e32 v52, v63, v23
	v_mul_f16_sdwa v57, v25, v22 dst_sel:DWORD dst_unused:UNUSED_PAD src0_sel:DWORD src1_sel:WORD_1
	v_mul_f16_sdwa v67, v63, v23 dst_sel:DWORD dst_unused:UNUSED_PAD src0_sel:DWORD src1_sel:WORD_1
	v_fmac_f16_e32 v50, v44, v21
	v_fmac_f16_e32 v54, v55, v24
	v_mul_f16_sdwa v69, v41, v29 dst_sel:DWORD dst_unused:UNUSED_PAD src0_sel:DWORD src1_sel:WORD_1
	v_mul_f16_sdwa v70, v12, v30 dst_sel:DWORD dst_unused:UNUSED_PAD src0_sel:DWORD src1_sel:WORD_1
	;; [unrolled: 1-line block ×6, first 2 shown]
	v_fmac_f16_e32 v48, v41, v29
	v_fmac_f16_e32 v46, v12, v30
	;; [unrolled: 1-line block ×4, first 2 shown]
	v_mul_f16_sdwa v74, v64, v34 dst_sel:DWORD dst_unused:UNUSED_PAD src0_sel:DWORD src1_sel:WORD_1
	v_mul_f16_sdwa v76, v59, v36 dst_sel:DWORD dst_unused:UNUSED_PAD src0_sel:DWORD src1_sel:WORD_1
	v_fmac_f16_e32 v27, v26, v33
	v_fmac_f16_e32 v6, v64, v34
	;; [unrolled: 1-line block ×4, first 2 shown]
	v_fma_f16 v56, v13, v21, -v53
	v_fma_f16 v55, v19, v24, -v68
	v_add_f16_e32 v19, v51, v52
	v_fma_f16 v57, v15, v22, -v57
	v_fma_f16 v53, v18, v23, -v67
	v_add_f16_e32 v24, v50, v54
	v_fma_f16 v25, v20, v29, -v69
	v_fma_f16 v29, v38, v30, -v70
	;; [unrolled: 1-line block ×6, first 2 shown]
	v_sub_f16_e32 v22, v50, v51
	v_sub_f16_e32 v23, v54, v52
	;; [unrolled: 1-line block ×4, first 2 shown]
	v_add_f16_e32 v35, v46, v47
	v_add_f16_e32 v42, v48, v49
	v_fma_f16 v15, v66, v34, -v74
	v_fma_f16 v12, v45, v36, -v76
	v_add_f16_e32 v18, v37, v50
	v_add_f16_e32 v59, v6, v7
	;; [unrolled: 1-line block ×3, first 2 shown]
	v_sub_f16_e32 v20, v56, v55
	v_sub_f16_e32 v43, v46, v48
	;; [unrolled: 1-line block ×3, first 2 shown]
	v_fma_f16 v19, -0.5, v19, v37
	v_sub_f16_e32 v21, v57, v53
	v_fmac_f16_e32 v37, -0.5, v24
	v_add_f16_e32 v34, v39, v48
	v_sub_f16_e32 v36, v25, v31
	v_sub_f16_e32 v38, v29, v30
	;; [unrolled: 1-line block ×4, first 2 shown]
	v_add_f16_e32 v45, v58, v27
	v_add_f16_e32 v22, v22, v23
	;; [unrolled: 1-line block ×3, first 2 shown]
	v_fma_f16 v33, -0.5, v35, v39
	v_fmac_f16_e32 v39, -0.5, v42
	v_sub_f16_e32 v60, v13, v12
	v_sub_f16_e32 v61, v15, v26
	;; [unrolled: 1-line block ×4, first 2 shown]
	v_add_f16_e32 v24, v18, v51
	v_fma_f16 v18, -0.5, v59, v58
	v_fmac_f16_e32 v58, -0.5, v64
	v_add_f16_e32 v35, v43, v44
	v_fmamk_f16 v43, v20, 0xbb9c, v19
	v_fmamk_f16 v44, v21, 0x3b9c, v37
	v_fmac_f16_e32 v37, 0xbb9c, v21
	v_add_f16_e32 v32, v34, v46
	v_add_f16_e32 v34, v40, v41
	;; [unrolled: 1-line block ×3, first 2 shown]
	v_fmac_f16_e32 v19, 0x3b9c, v20
	v_fmamk_f16 v45, v36, 0xbb9c, v33
	v_fmac_f16_e32 v33, 0x3b9c, v36
	v_fmamk_f16 v59, v38, 0x3b9c, v39
	v_fmac_f16_e32 v39, 0xbb9c, v38
	v_sub_f16_e32 v65, v6, v27
	v_sub_f16_e32 v66, v7, v28
	v_add_f16_e32 v41, v62, v63
	v_add_f16_e32 v24, v24, v52
	v_fmamk_f16 v62, v60, 0xbb9c, v18
	v_fmac_f16_e32 v18, 0x3b9c, v60
	v_fmamk_f16 v63, v61, 0x3b9c, v58
	v_fmac_f16_e32 v58, 0xbb9c, v61
	v_fmac_f16_e32 v43, 0xb8b4, v21
	;; [unrolled: 1-line block ×8, first 2 shown]
	v_add_f16_e32 v42, v65, v66
	v_add_f16_e32 v32, v32, v47
	;; [unrolled: 1-line block ×4, first 2 shown]
	v_fmac_f16_e32 v59, 0xb8b4, v36
	v_fmac_f16_e32 v62, 0xb8b4, v61
	;; [unrolled: 1-line block ×12, first 2 shown]
	v_add_f16_e32 v20, v32, v49
	v_add_f16_e32 v21, v40, v28
	v_fmac_f16_e32 v59, 0x34f2, v35
	v_fmac_f16_e32 v62, 0x34f2, v41
	;; [unrolled: 1-line block ×5, first 2 shown]
	ds_write_b16 v2, v24
	ds_write_b16 v2, v43 offset:54
	ds_write_b16 v2, v44 offset:108
	ds_write_b16 v2, v37 offset:162
	ds_write_b16 v2, v19 offset:216
	ds_write_b16 v1, v20
	ds_write_b16 v1, v45 offset:54
	ds_write_b16 v1, v59 offset:108
	ds_write_b16 v1, v39 offset:162
	ds_write_b16 v1, v33 offset:216
	;; [unrolled: 5-line block ×3, first 2 shown]
	s_waitcnt lgkmcnt(0)
	s_barrier
	buffer_gl0_inv
	ds_read_u16 v32, v14
	ds_read_u16 v40, v14 offset:1080
	ds_read_u16 v35, v14 offset:936
	ds_read_u16 v43, v14 offset:810
	ds_read_u16 v34, v14 offset:666
	ds_read_u16 v42, v14 offset:540
	ds_read_u16 v36, v14 offset:396
	ds_read_u16 v45, v14 offset:270
	ds_read_u16 v33, v14 offset:126
	ds_read_u16 v39, v14 offset:1746
	ds_read_u16 v44, v14 offset:1620
	ds_read_u16 v37, v14 offset:1476
	ds_read_u16 v41, v14 offset:1350
	ds_read_u16 v38, v14 offset:1206
                                        ; implicit-def: $vgpr21
                                        ; implicit-def: $vgpr22
                                        ; implicit-def: $vgpr20
                                        ; implicit-def: $vgpr23
                                        ; implicit-def: $vgpr19
                                        ; implicit-def: $vgpr24
	s_and_saveexec_b32 s1, s0
	s_cbranch_execz .LBB0_15
; %bb.14:
	ds_read_u16 v18, v14 offset:252
	ds_read_u16 v21, v14 offset:522
	;; [unrolled: 1-line block ×7, first 2 shown]
.LBB0_15:
	s_or_b32 exec_lo, exec_lo, s1
	v_add_f16_e32 v58, v57, v53
	v_add_f16_e32 v59, v5, v56
	v_sub_f16_e32 v50, v50, v54
	v_sub_f16_e32 v51, v51, v52
	v_sub_f16_e32 v52, v56, v57
	v_fma_f16 v54, -0.5, v58, v5
	v_sub_f16_e32 v58, v55, v53
	v_add_f16_e32 v60, v56, v55
	v_add_f16_e32 v59, v59, v57
	v_sub_f16_e32 v56, v57, v56
	v_fmamk_f16 v57, v50, 0x3b9c, v54
	v_add_f16_e32 v52, v52, v58
	v_fmac_f16_e32 v5, -0.5, v60
	v_add_f16_e32 v58, v59, v53
	v_fmac_f16_e32 v54, 0xbb9c, v50
	v_fmac_f16_e32 v57, 0x38b4, v51
	v_sub_f16_e32 v53, v53, v55
	v_fmamk_f16 v59, v51, 0xbb9c, v5
	v_add_f16_e32 v55, v58, v55
	v_fmac_f16_e32 v54, 0xb8b4, v51
	v_add_f16_e32 v58, v29, v30
	v_fmac_f16_e32 v5, 0x3b9c, v51
	v_add_f16_e32 v51, v3, v25
	v_add_f16_e32 v53, v56, v53
	v_sub_f16_e32 v48, v48, v49
	v_fma_f16 v56, -0.5, v58, v3
	v_fmac_f16_e32 v57, 0x34f2, v52
	v_add_f16_e32 v49, v51, v29
	v_fmac_f16_e32 v59, 0x38b4, v50
	v_fmac_f16_e32 v54, 0x34f2, v52
	;; [unrolled: 1-line block ×3, first 2 shown]
	v_fmamk_f16 v50, v48, 0x3b9c, v56
	v_sub_f16_e32 v46, v46, v47
	v_sub_f16_e32 v47, v25, v29
	;; [unrolled: 1-line block ×3, first 2 shown]
	v_fmac_f16_e32 v56, 0xbb9c, v48
	v_add_f16_e32 v52, v25, v31
	v_add_f16_e32 v49, v49, v30
	v_fmac_f16_e32 v50, 0x38b4, v46
	v_add_f16_e32 v47, v47, v51
	v_fmac_f16_e32 v56, 0xb8b4, v46
	v_fmac_f16_e32 v3, -0.5, v52
	v_add_f16_e32 v49, v49, v31
	v_sub_f16_e32 v29, v29, v25
	v_sub_f16_e32 v30, v30, v31
	v_add_f16_e32 v31, v4, v13
	v_fmac_f16_e32 v50, 0x34f2, v47
	v_fmac_f16_e32 v56, 0x34f2, v47
	v_fmamk_f16 v47, v46, 0xbb9c, v3
	v_add_f16_e32 v51, v15, v26
	v_fmac_f16_e32 v3, 0x3b9c, v46
	v_sub_f16_e32 v27, v27, v28
	v_add_f16_e32 v28, v29, v30
	v_add_f16_e32 v29, v31, v15
	v_add_f16_e32 v31, v13, v12
	v_fma_f16 v25, -0.5, v51, v4
	v_fmac_f16_e32 v47, 0x38b4, v48
	v_fmac_f16_e32 v3, 0xb8b4, v48
	v_sub_f16_e32 v6, v6, v7
	v_fmac_f16_e32 v4, -0.5, v31
	v_fmamk_f16 v30, v27, 0x3b9c, v25
	v_fmac_f16_e32 v47, 0x34f2, v28
	v_fmac_f16_e32 v3, 0x34f2, v28
	v_add_f16_e32 v7, v29, v26
	v_sub_f16_e32 v28, v13, v15
	v_sub_f16_e32 v29, v12, v26
	v_fmac_f16_e32 v25, 0xbb9c, v27
	v_fmamk_f16 v31, v6, 0xbb9c, v4
	v_sub_f16_e32 v13, v15, v13
	v_sub_f16_e32 v15, v26, v12
	v_fmac_f16_e32 v4, 0x3b9c, v6
	v_fmac_f16_e32 v30, 0x38b4, v6
	v_add_f16_e32 v26, v28, v29
	v_fmac_f16_e32 v25, 0xb8b4, v6
	v_fmac_f16_e32 v31, 0x38b4, v27
	v_add_f16_e32 v6, v13, v15
	v_fmac_f16_e32 v4, 0xb8b4, v27
	v_fmac_f16_e32 v59, 0x34f2, v53
	;; [unrolled: 1-line block ×3, first 2 shown]
	v_add_f16_e32 v7, v7, v12
	v_fmac_f16_e32 v30, 0x34f2, v26
	v_fmac_f16_e32 v25, 0x34f2, v26
	;; [unrolled: 1-line block ×4, first 2 shown]
	s_waitcnt lgkmcnt(0)
	s_barrier
	buffer_gl0_inv
	ds_write_b16 v2, v55
	ds_write_b16 v2, v57 offset:54
	ds_write_b16 v2, v59 offset:108
	ds_write_b16 v2, v5 offset:162
	ds_write_b16 v2, v54 offset:216
	ds_write_b16 v1, v49
	ds_write_b16 v1, v50 offset:54
	ds_write_b16 v1, v47 offset:108
	ds_write_b16 v1, v3 offset:162
	ds_write_b16 v1, v56 offset:216
	;; [unrolled: 5-line block ×3, first 2 shown]
	s_waitcnt lgkmcnt(0)
	s_barrier
	buffer_gl0_inv
	ds_read_u16 v46, v14
	ds_read_u16 v54, v14 offset:1080
	ds_read_u16 v49, v14 offset:936
	;; [unrolled: 1-line block ×13, first 2 shown]
                                        ; implicit-def: $vgpr28
                                        ; implicit-def: $vgpr29
                                        ; implicit-def: $vgpr26
                                        ; implicit-def: $vgpr30
                                        ; implicit-def: $vgpr27
                                        ; implicit-def: $vgpr31
	s_and_saveexec_b32 s1, s0
	s_cbranch_execz .LBB0_17
; %bb.16:
	ds_read_u16 v25, v14 offset:252
	ds_read_u16 v28, v14 offset:522
	;; [unrolled: 1-line block ×7, first 2 shown]
.LBB0_17:
	s_or_b32 exec_lo, exec_lo, s1
	s_and_saveexec_b32 s1, vcc_lo
	s_cbranch_execz .LBB0_20
; %bb.18:
	v_mul_u32_u24_e32 v0, 6, v16
	v_add_nc_u32_e32 v64, 63, v16
	v_mul_lo_u32 v62, s3, v10
	v_mul_hi_u32 v63, 0xf2b9d649, v16
	v_mul_lo_u32 v11, s2, v11
	v_lshlrev_b32_e32 v0, 2, v0
	v_mul_hi_u32 v65, 0xf2b9d649, v64
	v_mad_u64_u32 v[60:61], null, s2, v10, 0
	s_clause 0x1
	global_load_dwordx4 v[4:7], v0, s[8:9] offset:528
	global_load_dwordx2 v[14:15], v0, s[8:9] offset:544
	v_add_nc_u32_e32 v12, 0x5e8, v0
	v_lshrrev_b32_e32 v10, 7, v63
	s_clause 0x1
	global_load_dwordx4 v[0:3], v12, s[8:9] offset:528
	global_load_dwordx2 v[12:13], v12, s[8:9] offset:544
	v_lshrrev_b32_e32 v65, 7, v65
	v_add3_u32 v61, v61, v11, v62
	v_lshlrev_b64 v[62:63], 2, v[8:9]
	v_mov_b32_e32 v9, 0
	v_mul_lo_u32 v11, 0x87, v10
	v_mul_lo_u32 v66, 0x87, v65
	v_lshlrev_b64 v[60:61], 2, v[60:61]
	v_add_nc_u32_e32 v10, 0x7e, v16
	v_sub_nc_u32_e32 v11, v16, v11
	v_sub_nc_u32_e32 v8, v64, v66
	v_add_co_u32 v60, s1, s14, v60
	v_add_co_ci_u32_e64 v61, s1, s15, v61, s1
	v_mad_u64_u32 v[64:65], null, 0x3b1, v65, v[8:9]
	v_lshlrev_b32_e32 v11, 2, v11
	v_add_co_u32 v60, s1, v60, v62
	v_mov_b32_e32 v65, v9
	v_add_co_ci_u32_e64 v61, s1, v61, v63, s1
	v_add_nc_u32_e32 v8, 0x87, v64
	v_add_co_u32 v62, s1, v60, v11
	v_lshlrev_b64 v[65:66], 2, v[64:65]
	v_add_co_ci_u32_e64 v63, s1, 0, v61, s1
	v_lshlrev_b64 v[69:70], 2, v[8:9]
	v_add_nc_u32_e32 v8, 0x10e, v64
	v_add_co_u32 v67, s1, 0x800, v62
	v_add_co_ci_u32_e64 v68, s1, 0, v63, s1
	v_lshlrev_b64 v[71:72], 2, v[8:9]
	v_add_nc_u32_e32 v8, 0x195, v64
	v_add_co_u32 v65, s1, v60, v65
	;; [unrolled: 4-line block ×5, first 2 shown]
	v_add_co_ci_u32_e64 v74, s1, v61, v74, s1
	v_lshlrev_b64 v[79:80], 2, v[8:9]
	v_add_co_u32 v75, s1, v60, v75
	v_add_co_ci_u32_e64 v76, s1, v61, v76, s1
	v_cmp_gt_u32_e32 vcc_lo, 0x87, v10
	v_add_co_u32 v77, s1, v60, v77
	v_add_co_ci_u32_e64 v78, s1, v61, v78, s1
	v_add_co_u32 v79, s1, v60, v79
	v_add_co_ci_u32_e64 v80, s1, v61, v80, s1
	s_waitcnt vmcnt(3)
	v_lshrrev_b32_e32 v8, 16, v4
	v_lshrrev_b32_e32 v11, 16, v5
	;; [unrolled: 1-line block ×4, first 2 shown]
	v_mul_f16_e32 v82, v45, v4
	v_mul_f16_e32 v83, v40, v7
	;; [unrolled: 1-line block ×4, first 2 shown]
	s_waitcnt vmcnt(2)
	v_lshrrev_b32_e32 v86, 16, v14
	v_lshrrev_b32_e32 v87, 16, v15
	v_mul_f16_e32 v88, v44, v15
	v_mul_f16_e32 v89, v41, v14
	;; [unrolled: 1-line block ×6, first 2 shown]
	s_waitcnt lgkmcnt(6)
	v_fmac_f16_e32 v82, v59, v8
	v_fmac_f16_e32 v84, v58, v64
	s_waitcnt vmcnt(1)
	v_lshrrev_b32_e32 v8, 16, v0
	v_lshrrev_b32_e32 v64, 16, v2
	s_waitcnt lgkmcnt(3)
	v_fmac_f16_e32 v88, v56, v87
	v_mul_f16_e32 v44, v44, v87
	v_lshrrev_b32_e32 v87, 16, v3
	v_fmac_f16_e32 v83, v54, v81
	s_waitcnt vmcnt(0)
	v_lshrrev_b32_e32 v81, 16, v13
	v_mul_f16_e32 v90, v39, v13
	s_waitcnt lgkmcnt(1)
	v_fmac_f16_e32 v89, v55, v86
	v_mul_f16_e32 v41, v41, v86
	v_mul_f16_e32 v86, v36, v0
	v_fmac_f16_e32 v85, v57, v11
	v_lshrrev_b32_e32 v11, 16, v12
	v_mul_f16_e32 v91, v35, v2
	v_mul_f16_e32 v92, v38, v3
	;; [unrolled: 1-line block ×3, first 2 shown]
	v_lshrrev_b32_e32 v94, 16, v1
	v_mul_f16_e32 v95, v34, v1
	v_fma_f16 v4, v59, v4, -v45
	v_fma_f16 v7, v54, v7, -v40
	;; [unrolled: 1-line block ×3, first 2 shown]
	v_fmac_f16_e32 v90, v52, v81
	v_mul_f16_e32 v39, v39, v81
	v_fmac_f16_e32 v86, v50, v8
	v_mul_f16_e32 v8, v36, v8
	v_fmac_f16_e32 v91, v49, v64
	v_mul_f16_e32 v35, v35, v64
	s_waitcnt lgkmcnt(0)
	v_fmac_f16_e32 v92, v53, v87
	v_mul_f16_e32 v36, v38, v87
	v_fmac_f16_e32 v93, v51, v11
	v_mul_f16_e32 v11, v37, v11
	;; [unrolled: 2-line block ×3, first 2 shown]
	v_fma_f16 v15, v56, v15, -v44
	v_sub_f16_e32 v37, v82, v88
	v_fma_f16 v14, v55, v14, -v41
	v_sub_f16_e32 v38, v83, v84
	v_sub_f16_e32 v40, v85, v89
	v_fma_f16 v6, v58, v6, -v43
	v_add_f16_e32 v41, v82, v88
	v_add_f16_e32 v42, v83, v84
	;; [unrolled: 1-line block ×3, first 2 shown]
	v_sub_f16_e32 v44, v86, v90
	v_sub_f16_e32 v45, v92, v91
	;; [unrolled: 1-line block ×3, first 2 shown]
	v_fma_f16 v13, v52, v13, -v39
	v_fma_f16 v0, v50, v0, -v8
	;; [unrolled: 1-line block ×6, first 2 shown]
	v_add_f16_e32 v11, v86, v90
	v_add_f16_e32 v34, v95, v93
	v_sub_f16_e32 v35, v37, v38
	v_sub_f16_e32 v36, v38, v40
	v_add_f16_e32 v38, v38, v40
	v_add_f16_e32 v39, v4, v15
	;; [unrolled: 1-line block ×5, first 2 shown]
	v_sub_f16_e32 v50, v41, v42
	v_sub_f16_e32 v51, v42, v43
	v_add_f16_e32 v52, v41, v43
	v_sub_f16_e32 v4, v4, v15
	v_sub_f16_e32 v6, v7, v6
	;; [unrolled: 1-line block ×7, first 2 shown]
	v_add_f16_e32 v41, v45, v54
	v_add_f16_e32 v43, v0, v13
	;; [unrolled: 1-line block ×5, first 2 shown]
	v_sub_f16_e32 v0, v0, v13
	v_sub_f16_e32 v2, v3, v2
	;; [unrolled: 1-line block ×4, first 2 shown]
	v_add_f16_e32 v13, v37, v38
	v_add_f16_e32 v37, v39, v49
	v_sub_f16_e32 v55, v11, v12
	v_sub_f16_e32 v56, v12, v34
	;; [unrolled: 1-line block ×3, first 2 shown]
	v_mul_f16_e32 v11, 0x3846, v36
	v_sub_f16_e32 v34, v39, v48
	v_sub_f16_e32 v36, v48, v49
	v_mul_f16_e32 v38, 0x3a52, v50
	v_mul_f16_e32 v51, 0x2b26, v51
	v_add_f16_e32 v42, v42, v52
	v_sub_f16_e32 v52, v4, v6
	v_sub_f16_e32 v54, v6, v5
	v_add_f16_e32 v6, v6, v5
	v_mul_f16_e32 v58, 0xbb00, v7
	v_sub_f16_e32 v39, v49, v39
	v_sub_f16_e32 v5, v5, v4
	v_mul_f16_e32 v40, 0x3846, v40
	v_add_f16_e32 v41, v44, v41
	v_sub_f16_e32 v44, v43, v45
	v_sub_f16_e32 v49, v45, v53
	v_add_f16_e32 v59, v43, v53
	v_add_f16_e32 v12, v12, v57
	v_sub_f16_e32 v57, v0, v2
	v_sub_f16_e32 v81, v2, v1
	v_add_f16_e32 v2, v2, v1
	v_sub_f16_e32 v43, v53, v43
	v_mul_f16_e32 v53, 0xbb00, v3
	v_sub_f16_e32 v1, v1, v0
	v_add_f16_e32 v37, v48, v37
	v_mul_f16_e32 v64, 0x3a52, v55
	v_mul_f16_e32 v56, 0x2b26, v56
	v_fmamk_f16 v48, v35, 0xb574, v11
	v_add_f16_e32 v4, v4, v6
	v_mul_f16_e32 v6, 0x3a52, v34
	v_mul_f16_e32 v36, 0x2b26, v36
	v_fmamk_f16 v50, v50, 0x3a52, v51
	v_add_f16_e32 v32, v32, v42
	v_mul_f16_e32 v54, 0x3846, v54
	v_fma_f16 v35, v35, 0x3574, -v58
	v_fma_f16 v38, v14, 0xb9e0, -v38
	v_mul_f16_e32 v58, 0xbb00, v5
	v_fma_f16 v7, v7, 0xbb00, -v11
	v_fma_f16 v11, v14, 0x39e0, -v51
	v_fmamk_f16 v14, v15, 0xb574, v40
	v_mul_f16_e32 v51, 0x3a52, v44
	v_mul_f16_e32 v49, 0x2b26, v49
	v_add_f16_e32 v45, v45, v59
	v_add_f16_e32 v33, v33, v12
	v_mul_f16_e32 v59, 0x3846, v81
	v_add_f16_e32 v0, v0, v2
	v_fma_f16 v2, v15, 0x3574, -v53
	v_mul_f16_e32 v53, 0xbb00, v1
	v_fma_f16 v3, v3, 0xbb00, -v40
	v_add_f16_e32 v40, v46, v37
	v_fmamk_f16 v55, v55, 0x3a52, v56
	v_fma_f16 v15, v8, 0xb9e0, -v64
	v_fma_f16 v8, v8, 0x39e0, -v56
	v_fmac_f16_e32 v48, 0xb70e, v13
	v_fmamk_f16 v34, v34, 0x3a52, v36
	v_fmamk_f16 v42, v42, 0xbcab, v32
	;; [unrolled: 1-line block ×3, first 2 shown]
	v_fmac_f16_e32 v35, 0xb70e, v13
	v_fma_f16 v6, v39, 0xb9e0, -v6
	v_fma_f16 v52, v52, 0x3574, -v58
	;; [unrolled: 1-line block ×3, first 2 shown]
	v_fmac_f16_e32 v7, 0xb70e, v13
	v_fma_f16 v5, v5, 0xbb00, -v54
	v_fmamk_f16 v13, v44, 0x3a52, v49
	v_add_f16_e32 v39, v47, v45
	v_fmamk_f16 v12, v12, 0xbcab, v33
	v_fmamk_f16 v44, v57, 0xb574, v59
	v_fma_f16 v47, v43, 0xb9e0, -v51
	v_fma_f16 v51, v57, 0x3574, -v53
	;; [unrolled: 1-line block ×3, first 2 shown]
	v_fmamk_f16 v37, v37, 0xbcab, v40
	v_fmac_f16_e32 v14, 0xb70e, v41
	v_fmac_f16_e32 v2, 0xb70e, v41
	;; [unrolled: 1-line block ×3, first 2 shown]
	v_add_f16_e32 v41, v50, v42
	v_fmac_f16_e32 v46, 0xb70e, v4
	v_add_f16_e32 v38, v38, v42
	v_fmac_f16_e32 v52, 0xb70e, v4
	v_fmac_f16_e32 v5, 0xb70e, v4
	v_add_f16_e32 v4, v11, v42
	v_pack_b32_f16 v11, v32, v40
	v_fmamk_f16 v32, v45, 0xbcab, v39
	v_add_f16_e32 v40, v55, v12
	v_fmac_f16_e32 v44, 0xb70e, v0
	v_add_f16_e32 v15, v15, v12
	v_fmac_f16_e32 v51, 0xb70e, v0
	v_fmac_f16_e32 v1, 0xb70e, v0
	v_add_f16_e32 v0, v8, v12
	v_add_f16_e32 v8, v34, v37
	v_fma_f16 v43, v43, 0x39e0, -v49
	v_add_f16_e32 v6, v6, v37
	v_add_f16_e32 v36, v36, v37
	v_sub_f16_e32 v12, v41, v46
	v_sub_f16_e32 v34, v38, v52
	v_add_f16_e32 v37, v5, v4
	v_sub_f16_e32 v4, v4, v5
	v_add_f16_e32 v5, v52, v38
	v_add_f16_e32 v38, v46, v41
	global_store_dword v[62:63], v11, off
	v_pack_b32_f16 v11, v33, v39
	v_add_f16_e32 v13, v13, v32
	v_sub_f16_e32 v33, v40, v44
	v_sub_f16_e32 v41, v15, v51
	v_add_f16_e32 v42, v1, v0
	v_sub_f16_e32 v0, v0, v1
	v_add_f16_e32 v1, v51, v15
	v_add_f16_e32 v15, v44, v40
	;; [unrolled: 1-line block ×3, first 2 shown]
	v_sub_f16_e32 v8, v8, v48
	v_add_f16_e32 v39, v47, v32
	v_add_f16_e32 v32, v43, v32
	;; [unrolled: 1-line block ×3, first 2 shown]
	v_sub_f16_e32 v6, v6, v35
	v_sub_f16_e32 v44, v36, v7
	v_add_f16_e32 v7, v7, v36
	v_add_f16_e32 v35, v14, v13
	v_sub_f16_e32 v13, v13, v14
	v_pack_b32_f16 v8, v38, v8
	v_add_f16_e32 v36, v2, v39
	v_sub_f16_e32 v2, v39, v2
	v_pack_b32_f16 v5, v5, v6
	v_sub_f16_e32 v45, v32, v3
	v_add_f16_e32 v3, v3, v32
	v_pack_b32_f16 v4, v4, v7
	v_pack_b32_f16 v6, v37, v44
	;; [unrolled: 1-line block ×4, first 2 shown]
	global_store_dword v[62:63], v8, off offset:540
	global_store_dword v[62:63], v5, off offset:1080
	;; [unrolled: 1-line block ×6, first 2 shown]
	global_store_dword v[65:66], v11, off
	v_pack_b32_f16 v4, v15, v13
	v_pack_b32_f16 v1, v1, v2
	v_pack_b32_f16 v0, v0, v3
	v_pack_b32_f16 v2, v42, v45
	v_pack_b32_f16 v3, v41, v36
	v_pack_b32_f16 v5, v33, v35
	global_store_dword v[69:70], v4, off
	global_store_dword v[71:72], v1, off
	;; [unrolled: 1-line block ×6, first 2 shown]
	s_and_b32 exec_lo, exec_lo, vcc_lo
	s_cbranch_execz .LBB0_20
; %bb.19:
	v_add_nc_u32_e32 v0, -9, v16
	v_mov_b32_e32 v11, v9
	v_cndmask_b32_e64 v0, v0, v17, s0
	v_lshlrev_b64 v[6:7], 2, v[10:11]
	v_mul_i32_i24_e32 v8, 6, v0
	v_lshlrev_b64 v[0:1], 2, v[8:9]
	v_add_nc_u32_e32 v8, 0x105, v16
	v_lshlrev_b64 v[10:11], 2, v[8:9]
	v_add_co_u32 v4, vcc_lo, s8, v0
	v_add_co_ci_u32_e32 v5, vcc_lo, s9, v1, vcc_lo
	v_add_nc_u32_e32 v8, 0x18c, v16
	v_add_co_u32 v6, vcc_lo, v60, v6
	s_clause 0x1
	global_load_dwordx4 v[0:3], v[4:5], off offset:528
	global_load_dwordx2 v[4:5], v[4:5], off offset:544
	v_add_co_ci_u32_e32 v7, vcc_lo, v61, v7, vcc_lo
	v_lshlrev_b64 v[12:13], 2, v[8:9]
	v_add_nc_u32_e32 v8, 0x213, v16
	v_add_co_u32 v10, vcc_lo, v60, v10
	v_add_co_ci_u32_e32 v11, vcc_lo, v61, v11, vcc_lo
	v_lshlrev_b64 v[14:15], 2, v[8:9]
	v_add_nc_u32_e32 v8, 0x29a, v16
	v_add_co_u32 v12, vcc_lo, v60, v12
	;; [unrolled: 4-line block ×4, first 2 shown]
	v_add_co_ci_u32_e32 v17, vcc_lo, v61, v33, vcc_lo
	v_add_co_u32 v32, vcc_lo, v60, v34
	v_add_co_ci_u32_e32 v33, vcc_lo, v61, v35, vcc_lo
	v_lshlrev_b64 v[8:9], 2, v[8:9]
	v_add_co_u32 v8, vcc_lo, v60, v8
	v_add_co_ci_u32_e32 v9, vcc_lo, v61, v9, vcc_lo
	s_waitcnt vmcnt(1)
	v_mul_f16_sdwa v34, v28, v0 dst_sel:DWORD dst_unused:UNUSED_PAD src0_sel:DWORD src1_sel:WORD_1
	v_mul_f16_sdwa v35, v21, v0 dst_sel:DWORD dst_unused:UNUSED_PAD src0_sel:DWORD src1_sel:WORD_1
	;; [unrolled: 1-line block ×4, first 2 shown]
	s_waitcnt vmcnt(0)
	v_mul_f16_sdwa v42, v27, v4 dst_sel:DWORD dst_unused:UNUSED_PAD src0_sel:DWORD src1_sel:WORD_1
	v_mul_f16_sdwa v43, v19, v4 dst_sel:DWORD dst_unused:UNUSED_PAD src0_sel:DWORD src1_sel:WORD_1
	;; [unrolled: 1-line block ×8, first 2 shown]
	v_fmac_f16_e32 v34, v21, v0
	v_fma_f16 v0, v28, v0, -v35
	v_fmac_f16_e32 v36, v22, v1
	v_fma_f16 v1, v29, v1, -v37
	;; [unrolled: 2-line block ×6, first 2 shown]
	v_add_f16_e32 v19, v34, v44
	v_add_f16_e32 v20, v0, v5
	v_sub_f16_e32 v0, v0, v5
	v_add_f16_e32 v5, v36, v42
	v_add_f16_e32 v22, v1, v4
	v_sub_f16_e32 v23, v36, v42
	v_sub_f16_e32 v1, v1, v4
	v_add_f16_e32 v4, v38, v40
	v_add_f16_e32 v24, v2, v3
	v_sub_f16_e32 v26, v40, v38
	;; [unrolled: 4-line block ×3, first 2 shown]
	v_sub_f16_e32 v28, v5, v19
	v_sub_f16_e32 v29, v22, v20
	;; [unrolled: 1-line block ×6, first 2 shown]
	v_add_f16_e32 v30, v26, v23
	v_add_f16_e32 v31, v2, v1
	v_sub_f16_e32 v34, v26, v23
	v_sub_f16_e32 v35, v2, v1
	;; [unrolled: 1-line block ×3, first 2 shown]
	v_add_f16_e32 v3, v4, v3
	v_add_f16_e32 v4, v24, v27
	v_sub_f16_e32 v23, v23, v21
	v_sub_f16_e32 v26, v21, v26
	;; [unrolled: 1-line block ×3, first 2 shown]
	v_add_f16_e32 v21, v30, v21
	v_add_f16_e32 v0, v31, v0
	v_mul_f16_e32 v19, 0x3a52, v19
	v_mul_f16_e32 v20, 0x3a52, v20
	;; [unrolled: 1-line block ×7, first 2 shown]
	v_add_f16_e32 v18, v18, v3
	v_add_f16_e32 v25, v25, v4
	v_mul_f16_e32 v34, 0xbb00, v23
	v_fmamk_f16 v5, v5, 0x2b26, v19
	v_fmamk_f16 v22, v22, 0x2b26, v20
	v_fma_f16 v24, v28, 0x39e0, -v24
	v_fma_f16 v27, v29, 0x39e0, -v27
	v_fma_f16 v19, v28, 0xb9e0, -v19
	v_fma_f16 v20, v29, 0xb9e0, -v20
	v_fmamk_f16 v28, v26, 0xb574, v30
	v_fmamk_f16 v29, v2, 0xb574, v31
	v_fma_f16 v1, v1, 0xbb00, -v31
	v_fma_f16 v2, v2, 0x3574, -v35
	v_fmamk_f16 v3, v3, 0xbcab, v18
	v_fmamk_f16 v4, v4, 0xbcab, v25
	v_fma_f16 v23, v23, 0xbb00, -v30
	v_fma_f16 v26, v26, 0x3574, -v34
	v_fmac_f16_e32 v28, 0xb70e, v21
	v_fmac_f16_e32 v29, 0xb70e, v0
	;; [unrolled: 1-line block ×4, first 2 shown]
	v_pack_b32_f16 v0, v18, v25
	v_add_f16_e32 v5, v5, v3
	v_add_f16_e32 v18, v22, v4
	v_fmac_f16_e32 v23, 0xb70e, v21
	v_fmac_f16_e32 v26, 0xb70e, v21
	v_add_f16_e32 v21, v24, v3
	v_add_f16_e32 v22, v27, v4
	;; [unrolled: 1-line block ×4, first 2 shown]
	global_store_dword v[6:7], v0, off
	v_add_f16_e32 v0, v29, v5
	v_sub_f16_e32 v6, v18, v28
	v_add_f16_e32 v7, v2, v3
	v_sub_f16_e32 v19, v4, v26
	v_sub_f16_e32 v20, v21, v1
	v_add_f16_e32 v24, v23, v22
	v_add_f16_e32 v1, v1, v21
	v_sub_f16_e32 v21, v22, v23
	v_sub_f16_e32 v2, v3, v2
	v_add_f16_e32 v3, v26, v4
	v_sub_f16_e32 v4, v5, v29
	v_add_f16_e32 v5, v28, v18
	v_pack_b32_f16 v0, v0, v6
	v_pack_b32_f16 v6, v7, v19
	;; [unrolled: 1-line block ×6, first 2 shown]
	global_store_dword v[10:11], v0, off
	global_store_dword v[12:13], v6, off
	;; [unrolled: 1-line block ×6, first 2 shown]
.LBB0_20:
	s_endpgm
	.section	.rodata,"a",@progbits
	.p2align	6, 0x0
	.amdhsa_kernel fft_rtc_back_len945_factors_3_3_3_5_7_wgs_63_tpt_63_halfLds_half_op_CI_CI_unitstride_sbrr_dirReg
		.amdhsa_group_segment_fixed_size 0
		.amdhsa_private_segment_fixed_size 0
		.amdhsa_kernarg_size 104
		.amdhsa_user_sgpr_count 6
		.amdhsa_user_sgpr_private_segment_buffer 1
		.amdhsa_user_sgpr_dispatch_ptr 0
		.amdhsa_user_sgpr_queue_ptr 0
		.amdhsa_user_sgpr_kernarg_segment_ptr 1
		.amdhsa_user_sgpr_dispatch_id 0
		.amdhsa_user_sgpr_flat_scratch_init 0
		.amdhsa_user_sgpr_private_segment_size 0
		.amdhsa_wavefront_size32 1
		.amdhsa_uses_dynamic_stack 0
		.amdhsa_system_sgpr_private_segment_wavefront_offset 0
		.amdhsa_system_sgpr_workgroup_id_x 1
		.amdhsa_system_sgpr_workgroup_id_y 0
		.amdhsa_system_sgpr_workgroup_id_z 0
		.amdhsa_system_sgpr_workgroup_info 0
		.amdhsa_system_vgpr_workitem_id 0
		.amdhsa_next_free_vgpr 96
		.amdhsa_next_free_sgpr 27
		.amdhsa_reserve_vcc 1
		.amdhsa_reserve_flat_scratch 0
		.amdhsa_float_round_mode_32 0
		.amdhsa_float_round_mode_16_64 0
		.amdhsa_float_denorm_mode_32 3
		.amdhsa_float_denorm_mode_16_64 3
		.amdhsa_dx10_clamp 1
		.amdhsa_ieee_mode 1
		.amdhsa_fp16_overflow 0
		.amdhsa_workgroup_processor_mode 1
		.amdhsa_memory_ordered 1
		.amdhsa_forward_progress 0
		.amdhsa_shared_vgpr_count 0
		.amdhsa_exception_fp_ieee_invalid_op 0
		.amdhsa_exception_fp_denorm_src 0
		.amdhsa_exception_fp_ieee_div_zero 0
		.amdhsa_exception_fp_ieee_overflow 0
		.amdhsa_exception_fp_ieee_underflow 0
		.amdhsa_exception_fp_ieee_inexact 0
		.amdhsa_exception_int_div_zero 0
	.end_amdhsa_kernel
	.text
.Lfunc_end0:
	.size	fft_rtc_back_len945_factors_3_3_3_5_7_wgs_63_tpt_63_halfLds_half_op_CI_CI_unitstride_sbrr_dirReg, .Lfunc_end0-fft_rtc_back_len945_factors_3_3_3_5_7_wgs_63_tpt_63_halfLds_half_op_CI_CI_unitstride_sbrr_dirReg
                                        ; -- End function
	.section	.AMDGPU.csdata,"",@progbits
; Kernel info:
; codeLenInByte = 10908
; NumSgprs: 29
; NumVgprs: 96
; ScratchSize: 0
; MemoryBound: 0
; FloatMode: 240
; IeeeMode: 1
; LDSByteSize: 0 bytes/workgroup (compile time only)
; SGPRBlocks: 3
; VGPRBlocks: 11
; NumSGPRsForWavesPerEU: 29
; NumVGPRsForWavesPerEU: 96
; Occupancy: 10
; WaveLimiterHint : 1
; COMPUTE_PGM_RSRC2:SCRATCH_EN: 0
; COMPUTE_PGM_RSRC2:USER_SGPR: 6
; COMPUTE_PGM_RSRC2:TRAP_HANDLER: 0
; COMPUTE_PGM_RSRC2:TGID_X_EN: 1
; COMPUTE_PGM_RSRC2:TGID_Y_EN: 0
; COMPUTE_PGM_RSRC2:TGID_Z_EN: 0
; COMPUTE_PGM_RSRC2:TIDIG_COMP_CNT: 0
	.text
	.p2alignl 6, 3214868480
	.fill 48, 4, 3214868480
	.type	__hip_cuid_4030655ebc8774c5,@object ; @__hip_cuid_4030655ebc8774c5
	.section	.bss,"aw",@nobits
	.globl	__hip_cuid_4030655ebc8774c5
__hip_cuid_4030655ebc8774c5:
	.byte	0                               ; 0x0
	.size	__hip_cuid_4030655ebc8774c5, 1

	.ident	"AMD clang version 19.0.0git (https://github.com/RadeonOpenCompute/llvm-project roc-6.4.0 25133 c7fe45cf4b819c5991fe208aaa96edf142730f1d)"
	.section	".note.GNU-stack","",@progbits
	.addrsig
	.addrsig_sym __hip_cuid_4030655ebc8774c5
	.amdgpu_metadata
---
amdhsa.kernels:
  - .args:
      - .actual_access:  read_only
        .address_space:  global
        .offset:         0
        .size:           8
        .value_kind:     global_buffer
      - .offset:         8
        .size:           8
        .value_kind:     by_value
      - .actual_access:  read_only
        .address_space:  global
        .offset:         16
        .size:           8
        .value_kind:     global_buffer
      - .actual_access:  read_only
        .address_space:  global
        .offset:         24
        .size:           8
        .value_kind:     global_buffer
      - .actual_access:  read_only
        .address_space:  global
        .offset:         32
        .size:           8
        .value_kind:     global_buffer
      - .offset:         40
        .size:           8
        .value_kind:     by_value
      - .actual_access:  read_only
        .address_space:  global
        .offset:         48
        .size:           8
        .value_kind:     global_buffer
      - .actual_access:  read_only
        .address_space:  global
        .offset:         56
        .size:           8
        .value_kind:     global_buffer
      - .offset:         64
        .size:           4
        .value_kind:     by_value
      - .actual_access:  read_only
        .address_space:  global
        .offset:         72
        .size:           8
        .value_kind:     global_buffer
      - .actual_access:  read_only
        .address_space:  global
        .offset:         80
        .size:           8
        .value_kind:     global_buffer
      - .actual_access:  read_only
        .address_space:  global
        .offset:         88
        .size:           8
        .value_kind:     global_buffer
      - .actual_access:  write_only
        .address_space:  global
        .offset:         96
        .size:           8
        .value_kind:     global_buffer
    .group_segment_fixed_size: 0
    .kernarg_segment_align: 8
    .kernarg_segment_size: 104
    .language:       OpenCL C
    .language_version:
      - 2
      - 0
    .max_flat_workgroup_size: 63
    .name:           fft_rtc_back_len945_factors_3_3_3_5_7_wgs_63_tpt_63_halfLds_half_op_CI_CI_unitstride_sbrr_dirReg
    .private_segment_fixed_size: 0
    .sgpr_count:     29
    .sgpr_spill_count: 0
    .symbol:         fft_rtc_back_len945_factors_3_3_3_5_7_wgs_63_tpt_63_halfLds_half_op_CI_CI_unitstride_sbrr_dirReg.kd
    .uniform_work_group_size: 1
    .uses_dynamic_stack: false
    .vgpr_count:     96
    .vgpr_spill_count: 0
    .wavefront_size: 32
    .workgroup_processor_mode: 1
amdhsa.target:   amdgcn-amd-amdhsa--gfx1030
amdhsa.version:
  - 1
  - 2
...

	.end_amdgpu_metadata
